;; amdgpu-corpus repo=ROCm/rocFFT kind=compiled arch=gfx1201 opt=O3
	.text
	.amdgcn_target "amdgcn-amd-amdhsa--gfx1201"
	.amdhsa_code_object_version 6
	.protected	bluestein_single_fwd_len33_dim1_dp_op_CI_CI ; -- Begin function bluestein_single_fwd_len33_dim1_dp_op_CI_CI
	.globl	bluestein_single_fwd_len33_dim1_dp_op_CI_CI
	.p2align	8
	.type	bluestein_single_fwd_len33_dim1_dp_op_CI_CI,@function
bluestein_single_fwd_len33_dim1_dp_op_CI_CI: ; @bluestein_single_fwd_len33_dim1_dp_op_CI_CI
; %bb.0:
	s_load_b128 s[8:11], s[0:1], 0x28
	v_mul_u32_u24_e32 v1, 0x1746, v0
	s_mov_b32 s2, exec_lo
	s_delay_alu instid0(VALU_DEP_1) | instskip(NEXT) | instid1(VALU_DEP_1)
	v_lshrrev_b32_e32 v1, 16, v1
	v_mad_co_u64_u32 v[76:77], null, ttmp9, 23, v[1:2]
	v_mov_b32_e32 v77, 0
	s_wait_kmcnt 0x0
	s_delay_alu instid0(VALU_DEP_1)
	v_cmpx_gt_u64_e64 s[8:9], v[76:77]
	s_cbranch_execz .LBB0_15
; %bb.1:
	v_mul_hi_u32 v2, 0xb21642c9, v76
	v_mul_lo_u16 v1, v1, 11
	s_clause 0x1
	s_load_b64 s[12:13], s[0:1], 0x0
	s_load_b64 s[8:9], s[0:1], 0x38
	s_delay_alu instid0(VALU_DEP_1) | instskip(NEXT) | instid1(VALU_DEP_3)
	v_sub_nc_u16 v0, v0, v1
	v_lshrrev_b32_e32 v2, 4, v2
	s_delay_alu instid0(VALU_DEP_2) | instskip(SKIP_1) | instid1(VALU_DEP_3)
	v_and_b32_e32 v139, 0xffff, v0
	v_cmp_gt_u16_e32 vcc_lo, 3, v0
	v_mul_lo_u32 v2, v2, 23
	s_delay_alu instid0(VALU_DEP_3) | instskip(SKIP_2) | instid1(VALU_DEP_4)
	v_lshlrev_b32_e32 v141, 4, v139
	v_or_b32_e32 v137, 12, v139
	v_or_b32_e32 v138, 24, v139
	v_sub_nc_u32_e32 v1, v76, v2
	s_delay_alu instid0(VALU_DEP_1) | instskip(NEXT) | instid1(VALU_DEP_1)
	v_mul_u32_u24_e32 v140, 33, v1
	v_lshlrev_b32_e32 v142, 4, v140
	s_and_saveexec_b32 s3, vcc_lo
	s_cbranch_execz .LBB0_3
; %bb.2:
	s_load_b64 s[4:5], s[0:1], 0x18
	s_wait_kmcnt 0x0
	s_load_b128 s[4:7], s[4:5], 0x0
	s_wait_kmcnt 0x0
	v_mad_co_u64_u32 v[4:5], null, s6, v76, 0
	v_mad_co_u64_u32 v[6:7], null, s4, v139, 0
	;; [unrolled: 1-line block ×4, first 2 shown]
	s_delay_alu instid0(VALU_DEP_3) | instskip(NEXT) | instid1(VALU_DEP_1)
	v_dual_mov_b32 v0, v5 :: v_dual_mov_b32 v1, v7
	v_mad_co_u64_u32 v[2:3], null, s7, v76, v[0:1]
	s_mul_u64 s[6:7], s[4:5], 48
	s_delay_alu instid0(VALU_DEP_1) | instskip(SKIP_4) | instid1(VALU_DEP_2)
	v_mov_b32_e32 v5, v2
	v_mad_co_u64_u32 v[7:8], null, s5, v139, v[1:2]
	global_load_b128 v[0:3], v141, s[12:13] offset:384
	v_lshlrev_b64_e32 v[4:5], 4, v[4:5]
	v_lshlrev_b64_e32 v[6:7], 4, v[6:7]
	v_add_co_u32 v36, s2, s10, v4
	v_mov_b32_e32 v4, v29
	s_delay_alu instid0(VALU_DEP_4) | instskip(NEXT) | instid1(VALU_DEP_3)
	v_add_co_ci_u32_e64 v37, s2, s11, v5, s2
	v_add_co_u32 v32, s2, v36, v6
	v_mov_b32_e32 v5, v31
	s_wait_alu 0xf1ff
	s_delay_alu instid0(VALU_DEP_3)
	v_add_co_ci_u32_e64 v33, s2, v37, v7, s2
	s_wait_alu 0xfffe
	v_add_co_u32 v48, s2, v32, s6
	v_mad_co_u64_u32 v[20:21], null, s5, v137, v[4:5]
	s_wait_alu 0xf1ff
	v_add_co_ci_u32_e64 v49, s2, s7, v33, s2
	s_delay_alu instid0(VALU_DEP_3) | instskip(SKIP_2) | instid1(VALU_DEP_3)
	v_add_co_u32 v52, s2, v48, s6
	v_mad_co_u64_u32 v[21:22], null, s5, v138, v[5:6]
	s_wait_alu 0xf1ff
	v_add_co_ci_u32_e64 v53, s2, s7, v49, s2
	s_delay_alu instid0(VALU_DEP_3) | instskip(SKIP_2) | instid1(VALU_DEP_3)
	v_add_co_u32 v56, s2, v52, s6
	v_mov_b32_e32 v29, v20
	s_wait_alu 0xf1ff
	v_add_co_ci_u32_e64 v57, s2, s7, v53, s2
	s_mulk_i32 s5, 0x60
	v_mov_b32_e32 v31, v21
	v_lshlrev_b64_e32 v[28:29], 4, v[28:29]
	s_delay_alu instid0(VALU_DEP_3)
	v_mad_co_u64_u32 v[60:61], null, 0x60, s4, v[56:57]
	s_clause 0x1
	global_load_b128 v[4:7], v141, s[12:13]
	global_load_b128 v[8:11], v141, s[12:13] offset:48
	v_lshlrev_b64_e32 v[30:31], 4, v[30:31]
	s_clause 0x3
	global_load_b128 v[12:15], v141, s[12:13] offset:192
	global_load_b128 v[16:19], v141, s[12:13] offset:240
	;; [unrolled: 1-line block ×4, first 2 shown]
	s_wait_alu 0xfffe
	v_add_nc_u32_e32 v61, s5, v61
	v_add_co_u32 v64, s2, v60, s6
	s_wait_alu 0xf1ff
	s_delay_alu instid0(VALU_DEP_2)
	v_add_co_ci_u32_e64 v65, s2, s7, v61, s2
	v_add_co_u32 v34, s2, v36, v28
	s_wait_alu 0xf1ff
	v_add_co_ci_u32_e64 v35, s2, v37, v29, s2
	v_add_co_u32 v68, s2, v64, s6
	s_wait_alu 0xf1ff
	;; [unrolled: 3-line block ×3, first 2 shown]
	v_add_co_ci_u32_e64 v37, s2, v37, v31, s2
	s_delay_alu instid0(VALU_DEP_3)
	v_mad_co_u64_u32 v[77:78], null, 0x60, s4, v[68:69]
	s_clause 0x2
	global_load_b128 v[28:31], v[32:33], off
	global_load_b128 v[32:35], v[34:35], off
	;; [unrolled: 1-line block ×3, first 2 shown]
	s_clause 0x1
	global_load_b128 v[40:43], v141, s[12:13] offset:288
	global_load_b128 v[44:47], v141, s[12:13] offset:336
	s_clause 0x3
	global_load_b128 v[48:51], v[48:49], off
	global_load_b128 v[52:55], v[52:53], off
	;; [unrolled: 1-line block ×5, first 2 shown]
	v_add_nc_u32_e32 v78, s5, v78
	v_add_co_u32 v85, s2, v77, s6
	s_wait_alu 0xf1ff
	s_delay_alu instid0(VALU_DEP_2)
	v_add_co_ci_u32_e64 v86, s2, s7, v78, s2
	global_load_b128 v[68:71], v[68:69], off
	global_load_b128 v[72:75], v141, s[12:13] offset:432
	global_load_b128 v[77:80], v[77:78], off
	global_load_b128 v[81:84], v141, s[12:13] offset:480
	global_load_b128 v[85:88], v[85:86], off
	s_wait_loadcnt 0xc
	v_mul_f64_e32 v[93:94], v[38:39], v[2:3]
	v_mul_f64_e32 v[95:96], v[36:37], v[2:3]
	s_wait_loadcnt 0x9
	v_mul_f64_e32 v[97:98], v[50:51], v[10:11]
	v_mul_f64_e32 v[89:90], v[30:31], v[6:7]
	;; [unrolled: 1-line block ×4, first 2 shown]
	s_wait_loadcnt 0x8
	v_mul_f64_e32 v[101:102], v[54:55], v[22:23]
	v_mul_f64_e32 v[22:23], v[52:53], v[22:23]
	s_wait_loadcnt 0x7
	v_mul_f64_e32 v[103:104], v[58:59], v[26:27]
	v_mul_f64_e32 v[105:106], v[56:57], v[26:27]
	;; [unrolled: 1-line block ×4, first 2 shown]
	s_wait_loadcnt 0x6
	v_mul_f64_e32 v[107:108], v[62:63], v[18:19]
	v_mul_f64_e32 v[109:110], v[60:61], v[18:19]
	s_wait_loadcnt 0x5
	v_mul_f64_e32 v[111:112], v[66:67], v[42:43]
	v_mul_f64_e32 v[42:43], v[64:65], v[42:43]
	s_wait_loadcnt 0x4
	v_mul_f64_e32 v[113:114], v[70:71], v[46:47]
	v_mul_f64_e32 v[46:47], v[68:69], v[46:47]
	s_wait_loadcnt 0x2
	v_mul_f64_e32 v[115:116], v[79:80], v[74:75]
	v_mul_f64_e32 v[74:75], v[77:78], v[74:75]
	s_wait_loadcnt 0x0
	v_mul_f64_e32 v[117:118], v[87:88], v[83:84]
	v_mul_f64_e32 v[83:84], v[85:86], v[83:84]
	v_fma_f64 v[26:27], v[36:37], v[0:1], v[93:94]
	v_fma_f64 v[2:3], v[28:29], v[4:5], v[89:90]
	v_fma_f64 v[4:5], v[30:31], v[4:5], -v[6:7]
	v_fma_f64 v[6:7], v[48:49], v[8:9], v[97:98]
	v_fma_f64 v[8:9], v[50:51], v[8:9], -v[99:100]
	;; [unrolled: 2-line block ×8, first 2 shown]
	v_fma_f64 v[28:29], v[38:39], v[0:1], -v[95:96]
	v_fma_f64 v[38:39], v[77:78], v[72:73], v[115:116]
	v_fma_f64 v[40:41], v[79:80], v[72:73], -v[74:75]
	v_fma_f64 v[42:43], v[85:86], v[81:82], v[117:118]
	v_fma_f64 v[44:45], v[87:88], v[81:82], -v[83:84]
	v_lshl_add_u32 v0, v139, 4, v142
	v_add_nc_u32_e32 v1, v142, v141
	ds_store_b128 v0, v[2:5]
	ds_store_b128 v1, v[6:9] offset:48
	ds_store_b128 v1, v[18:21] offset:96
	ds_store_b128 v1, v[22:25] offset:144
	ds_store_b128 v1, v[10:13] offset:192
	ds_store_b128 v1, v[14:17] offset:240
	ds_store_b128 v1, v[30:33] offset:288
	ds_store_b128 v1, v[34:37] offset:336
	ds_store_b128 v1, v[26:29] offset:384
	ds_store_b128 v1, v[38:41] offset:432
	ds_store_b128 v1, v[42:45] offset:480
.LBB0_3:
	s_or_b32 exec_lo, exec_lo, s3
	s_clause 0x1
	s_load_b64 s[2:3], s[0:1], 0x20
	s_load_b64 s[4:5], s[0:1], 0x8
	global_wb scope:SCOPE_SE
	s_wait_dscnt 0x0
	s_wait_kmcnt 0x0
	s_barrier_signal -1
	s_barrier_wait -1
	global_inv scope:SCOPE_SE
                                        ; implicit-def: $vgpr46_vgpr47
                                        ; implicit-def: $vgpr54_vgpr55
                                        ; implicit-def: $vgpr58_vgpr59
                                        ; implicit-def: $vgpr50_vgpr51
                                        ; implicit-def: $vgpr42_vgpr43
                                        ; implicit-def: $vgpr22_vgpr23
                                        ; implicit-def: $vgpr18_vgpr19
                                        ; implicit-def: $vgpr64_vgpr65
                                        ; implicit-def: $vgpr60_vgpr61
                                        ; implicit-def: $vgpr68_vgpr69
                                        ; implicit-def: $vgpr72_vgpr73
	s_and_saveexec_b32 s0, vcc_lo
	s_cbranch_execz .LBB0_5
; %bb.4:
	v_lshl_add_u32 v0, v140, 4, v141
	ds_load_b128 v[16:19], v0
	ds_load_b128 v[20:23], v0 offset:48
	ds_load_b128 v[40:43], v0 offset:96
	;; [unrolled: 1-line block ×10, first 2 shown]
.LBB0_5:
	s_wait_alu 0xfffe
	s_or_b32 exec_lo, exec_lo, s0
	s_wait_dscnt 0x0
	v_add_f64_e64 v[0:1], v[22:23], -v[74:75]
	v_add_f64_e64 v[2:3], v[20:21], -v[72:73]
	s_mov_b32 s14, 0xf8bb580b
	s_mov_b32 s16, 0x8eee2c13
	;; [unrolled: 1-line block ×10, first 2 shown]
	v_add_f64_e32 v[77:78], v[20:21], v[72:73]
	v_add_f64_e32 v[79:80], v[22:23], v[74:75]
	v_add_f64_e64 v[4:5], v[42:43], -v[70:71]
	v_add_f64_e64 v[6:7], v[40:41], -v[68:69]
	s_mov_b32 s0, 0x8764f0ba
	s_mov_b32 s10, 0xd9c712b6
	;; [unrolled: 1-line block ×16, first 2 shown]
	v_add_f64_e32 v[81:82], v[40:41], v[68:69]
	v_add_f64_e32 v[83:84], v[42:43], v[70:71]
	v_add_f64_e64 v[8:9], v[50:51], -v[62:63]
	v_add_f64_e64 v[10:11], v[48:49], -v[60:61]
	s_mov_b32 s35, 0x3fed1bb4
	s_mov_b32 s34, s16
	v_mul_f64_e32 v[91:92], s[14:15], v[0:1]
	v_mul_f64_e32 v[93:94], s[14:15], v[2:3]
	v_mul_f64_e32 v[95:96], s[16:17], v[0:1]
	v_mul_f64_e32 v[97:98], s[16:17], v[2:3]
	v_mul_f64_e32 v[26:27], s[20:21], v[0:1]
	v_mul_f64_e32 v[28:29], s[20:21], v[2:3]
	v_mul_f64_e32 v[32:33], s[26:27], v[0:1]
	v_mul_f64_e32 v[34:35], s[26:27], v[2:3]
	v_mul_f64_e32 v[0:1], s[18:19], v[0:1]
	v_mul_f64_e32 v[2:3], s[18:19], v[2:3]
	v_add_f64_e32 v[85:86], v[48:49], v[60:61]
	v_add_f64_e32 v[87:88], v[50:51], v[62:63]
	v_add_f64_e64 v[12:13], v[58:59], -v[66:67]
	v_add_f64_e64 v[14:15], v[56:57], -v[64:65]
	v_mul_f64_e32 v[117:118], s[16:17], v[4:5]
	v_mul_f64_e32 v[119:120], s[16:17], v[6:7]
	;; [unrolled: 1-line block ×10, first 2 shown]
	v_add_f64_e32 v[89:90], v[56:57], v[64:65]
	v_add_f64_e32 v[24:25], v[44:45], v[52:53]
	;; [unrolled: 1-line block ×3, first 2 shown]
	v_add_f64_e64 v[30:31], v[52:53], -v[44:45]
	v_add_f64_e64 v[103:104], v[54:55], -v[46:47]
	v_add_f64_e32 v[101:102], v[46:47], v[54:55]
	global_wb scope:SCOPE_SE
	s_barrier_signal -1
	s_barrier_wait -1
	global_inv scope:SCOPE_SE
	v_mul_f64_e32 v[113:114], s[20:21], v[8:9]
	v_mul_f64_e32 v[115:116], s[20:21], v[10:11]
	;; [unrolled: 1-line block ×4, first 2 shown]
	s_wait_alu 0xfffe
	v_fma_f64 v[133:134], v[77:78], s[0:1], v[91:92]
	v_fma_f64 v[135:136], v[79:80], s[0:1], -v[93:94]
	v_fma_f64 v[143:144], v[77:78], s[10:11], v[95:96]
	v_fma_f64 v[145:146], v[79:80], s[10:11], -v[97:98]
	v_fma_f64 v[147:148], v[77:78], s[6:7], -v[26:27]
	v_fma_f64 v[149:150], v[79:80], s[6:7], v[28:29]
	v_fma_f64 v[26:27], v[77:78], s[6:7], v[26:27]
	v_fma_f64 v[28:29], v[79:80], s[6:7], -v[28:29]
	v_fma_f64 v[155:156], v[77:78], s[22:23], -v[32:33]
	v_fma_f64 v[157:158], v[79:80], s[22:23], v[34:35]
	;; [unrolled: 4-line block ×3, first 2 shown]
	v_fma_f64 v[0:1], v[77:78], s[24:25], v[0:1]
	v_fma_f64 v[2:3], v[79:80], s[24:25], -v[2:3]
	v_mul_f64_e32 v[163:164], s[34:35], v[8:9]
	v_mul_f64_e32 v[165:166], s[34:35], v[10:11]
	;; [unrolled: 1-line block ×5, first 2 shown]
	v_fma_f64 v[171:172], v[81:82], s[10:11], v[117:118]
	v_fma_f64 v[173:174], v[83:84], s[10:11], -v[119:120]
	v_fma_f64 v[175:176], v[81:82], s[22:23], v[123:124]
	v_fma_f64 v[177:178], v[83:84], s[22:23], -v[127:128]
	v_fma_f64 v[179:180], v[81:82], s[24:25], -v[36:37]
	v_fma_f64 v[181:182], v[83:84], s[24:25], v[38:39]
	v_fma_f64 v[36:37], v[81:82], s[24:25], v[36:37]
	v_fma_f64 v[38:39], v[83:84], s[24:25], -v[38:39]
	v_mul_f64_e32 v[10:11], s[26:27], v[10:11]
	v_fma_f64 v[185:186], v[81:82], s[6:7], -v[151:152]
	v_fma_f64 v[187:188], v[83:84], s[6:7], v[153:154]
	v_fma_f64 v[151:152], v[81:82], s[6:7], v[151:152]
	v_fma_f64 v[153:154], v[83:84], s[6:7], -v[153:154]
	v_fma_f64 v[189:190], v[81:82], s[0:1], -v[4:5]
	v_fma_f64 v[191:192], v[83:84], s[0:1], v[6:7]
	v_fma_f64 v[4:5], v[81:82], s[0:1], v[4:5]
	v_fma_f64 v[6:7], v[83:84], s[0:1], -v[6:7]
	v_add_f64_e32 v[183:184], v[16:17], v[133:134]
	v_add_f64_e32 v[135:136], v[18:19], v[135:136]
	;; [unrolled: 1-line block ×16, first 2 shown]
	v_mul_f64_e32 v[107:108], s[26:27], v[12:13]
	v_mul_f64_e32 v[109:110], s[26:27], v[14:15]
	;; [unrolled: 1-line block ×8, first 2 shown]
	v_fma_f64 v[201:202], v[85:86], s[6:7], v[113:114]
	v_fma_f64 v[203:204], v[87:88], s[6:7], -v[115:116]
	v_fma_f64 v[205:206], v[85:86], s[24:25], v[129:130]
	v_fma_f64 v[207:208], v[87:88], s[24:25], -v[131:132]
	v_fma_f64 v[209:210], v[85:86], s[10:11], -v[163:164]
	v_fma_f64 v[211:212], v[87:88], s[10:11], v[165:166]
	v_fma_f64 v[163:164], v[85:86], s[10:11], v[163:164]
	v_fma_f64 v[165:166], v[87:88], s[10:11], -v[165:166]
	v_mul_f64_e32 v[12:13], s[34:35], v[12:13]
	v_mul_f64_e32 v[14:15], s[34:35], v[14:15]
	;; [unrolled: 1-line block ×5, first 2 shown]
	s_mov_b32 s15, 0x3fe82f19
	v_add_f64_e32 v[171:172], v[171:172], v[183:184]
	v_add_f64_e32 v[173:174], v[173:174], v[135:136]
	v_add_f64_e32 v[143:144], v[175:176], v[143:144]
	v_add_f64_e32 v[145:146], v[177:178], v[145:146]
	v_add_f64_e32 v[147:148], v[179:180], v[147:148]
	v_add_f64_e32 v[149:150], v[181:182], v[149:150]
	v_add_f64_e32 v[26:27], v[36:37], v[26:27]
	v_add_f64_e32 v[28:29], v[38:39], v[28:29]
	v_fma_f64 v[36:37], v[85:86], s[0:1], -v[167:168]
	v_fma_f64 v[38:39], v[87:88], s[0:1], v[169:170]
	v_add_f64_e32 v[155:156], v[185:186], v[155:156]
	v_add_f64_e32 v[157:158], v[187:188], v[157:158]
	v_fma_f64 v[167:168], v[85:86], s[0:1], v[167:168]
	v_fma_f64 v[169:170], v[87:88], s[0:1], -v[169:170]
	v_add_f64_e32 v[32:33], v[151:152], v[32:33]
	v_add_f64_e32 v[34:35], v[153:154], v[34:35]
	v_fma_f64 v[151:152], v[85:86], s[22:23], -v[8:9]
	v_fma_f64 v[153:154], v[87:88], s[22:23], v[10:11]
	v_add_f64_e32 v[159:160], v[189:190], v[159:160]
	v_add_f64_e32 v[161:162], v[191:192], v[161:162]
	v_fma_f64 v[8:9], v[85:86], s[22:23], v[8:9]
	v_add_f64_e32 v[0:1], v[4:5], v[0:1]
	v_fma_f64 v[4:5], v[87:88], s[22:23], -v[10:11]
	v_add_f64_e32 v[2:3], v[6:7], v[2:3]
	v_mul_f64_e32 v[135:136], s[28:29], v[30:31]
	v_mul_f64_e32 v[6:7], s[22:23], v[24:25]
	;; [unrolled: 1-line block ×6, first 2 shown]
	v_fma_f64 v[179:180], v[89:90], s[22:23], v[107:108]
	v_fma_f64 v[181:182], v[99:100], s[22:23], -v[109:110]
	v_fma_f64 v[183:184], v[89:90], s[6:7], v[121:122]
	v_fma_f64 v[185:186], v[99:100], s[6:7], -v[125:126]
	v_fma_f64 v[187:188], v[89:90], s[0:1], -v[193:194]
	v_fma_f64 v[189:190], v[99:100], s[0:1], v[195:196]
	v_mul_f64_e32 v[30:31], s[20:21], v[30:31]
	s_mov_b32 s14, s26
	v_add_f64_e32 v[171:172], v[201:202], v[171:172]
	v_add_f64_e32 v[173:174], v[203:204], v[173:174]
	;; [unrolled: 1-line block ×8, first 2 shown]
	v_fma_f64 v[163:164], v[89:90], s[0:1], v[193:194]
	v_fma_f64 v[165:166], v[99:100], s[0:1], -v[195:196]
	v_add_f64_e32 v[36:37], v[36:37], v[155:156]
	v_add_f64_e32 v[38:39], v[38:39], v[157:158]
	v_fma_f64 v[155:156], v[89:90], s[24:25], -v[197:198]
	v_fma_f64 v[157:158], v[99:100], s[24:25], v[199:200]
	v_add_f64_e32 v[32:33], v[167:168], v[32:33]
	v_add_f64_e32 v[34:35], v[169:170], v[34:35]
	v_fma_f64 v[167:168], v[89:90], s[24:25], v[197:198]
	v_fma_f64 v[169:170], v[99:100], s[24:25], -v[199:200]
	v_add_f64_e32 v[151:152], v[151:152], v[159:160]
	v_add_f64_e32 v[153:154], v[153:154], v[161:162]
	v_fma_f64 v[159:160], v[89:90], s[10:11], -v[12:13]
	v_fma_f64 v[161:162], v[99:100], s[10:11], v[14:15]
	v_add_f64_e32 v[0:1], v[8:9], v[0:1]
	v_fma_f64 v[8:9], v[89:90], s[10:11], v[12:13]
	v_fma_f64 v[12:13], v[99:100], s[10:11], -v[14:15]
	v_add_f64_e32 v[2:3], v[4:5], v[2:3]
	v_fma_f64 v[4:5], v[103:104], s[18:19], v[105:106]
	v_fma_f64 v[14:15], v[101:102], s[24:25], -v[111:112]
	v_fma_f64 v[191:192], v[103:104], s[28:29], v[133:134]
	v_fma_f64 v[193:194], v[101:102], s[0:1], -v[135:136]
	s_wait_alu 0xfffe
	v_fma_f64 v[195:196], v[103:104], s[14:15], v[6:7]
	v_fma_f64 v[197:198], v[101:102], s[22:23], v[10:11]
	v_fma_f64 v[199:200], v[103:104], s[26:27], v[6:7]
	v_fma_f64 v[10:11], v[101:102], s[22:23], -v[10:11]
	v_fma_f64 v[201:202], v[103:104], s[16:17], v[175:176]
	v_fma_f64 v[203:204], v[101:102], s[10:11], v[177:178]
	v_fma_f64 v[175:176], v[103:104], s[34:35], v[175:176]
	v_fma_f64 v[177:178], v[101:102], s[10:11], -v[177:178]
	;; [unrolled: 4-line block ×3, first 2 shown]
	v_add_f64_e32 v[6:7], v[179:180], v[171:172]
	v_add_f64_e32 v[30:31], v[181:182], v[173:174]
	;; [unrolled: 1-line block ×26, first 2 shown]
	v_mul_lo_u16 v143, v139, 11
	v_add_f64_e32 v[12:13], v[175:176], v[163:164]
	v_add_f64_e32 v[14:15], v[177:178], v[165:166]
	;; [unrolled: 1-line block ×6, first 2 shown]
	s_and_saveexec_b32 s14, vcc_lo
	s_cbranch_execz .LBB0_7
; %bb.6:
	v_add_f64_e32 v[22:23], v[22:23], v[18:19]
	v_add_f64_e32 v[20:21], v[20:21], v[16:17]
	s_delay_alu instid0(VALU_DEP_2) | instskip(NEXT) | instid1(VALU_DEP_2)
	v_add_f64_e32 v[22:23], v[42:43], v[22:23]
	v_add_f64_e32 v[20:21], v[40:41], v[20:21]
	v_mul_f64_e32 v[40:41], s[10:11], v[79:80]
	v_mul_f64_e32 v[42:43], s[10:11], v[77:78]
	s_delay_alu instid0(VALU_DEP_4) | instskip(NEXT) | instid1(VALU_DEP_4)
	v_add_f64_e32 v[22:23], v[50:51], v[22:23]
	v_add_f64_e32 v[20:21], v[48:49], v[20:21]
	v_mul_f64_e32 v[48:49], s[0:1], v[79:80]
	v_mul_f64_e32 v[50:51], s[0:1], v[77:78]
	v_add_f64_e32 v[40:41], v[97:98], v[40:41]
	v_add_f64_e64 v[42:43], v[42:43], -v[95:96]
	v_mul_f64_e32 v[77:78], s[10:11], v[83:84]
	v_mul_f64_e32 v[79:80], s[10:11], v[81:82]
	v_add_f64_e32 v[22:23], v[58:59], v[22:23]
	v_add_f64_e32 v[20:21], v[56:57], v[20:21]
	v_mul_f64_e32 v[56:57], s[22:23], v[83:84]
	v_mul_f64_e32 v[58:59], s[22:23], v[81:82]
	v_add_f64_e32 v[48:49], v[93:94], v[48:49]
	v_add_f64_e64 v[50:51], v[50:51], -v[91:92]
	v_mul_f64_e32 v[81:82], s[24:25], v[85:86]
	v_mul_f64_e32 v[83:84], s[24:25], v[87:88]
	v_add_f64_e32 v[40:41], v[18:19], v[40:41]
	v_add_f64_e32 v[42:43], v[16:17], v[42:43]
	;; [unrolled: 1-line block ×3, first 2 shown]
	v_add_f64_e64 v[79:80], v[79:80], -v[117:118]
	v_add_f64_e32 v[22:23], v[54:55], v[22:23]
	v_add_f64_e32 v[20:21], v[52:53], v[20:21]
	;; [unrolled: 1-line block ×3, first 2 shown]
	v_add_f64_e64 v[58:59], v[58:59], -v[123:124]
	v_mul_f64_e32 v[52:53], s[6:7], v[85:86]
	v_mul_f64_e32 v[54:55], s[6:7], v[87:88]
	v_add_f64_e32 v[18:19], v[18:19], v[48:49]
	v_add_f64_e32 v[16:17], v[16:17], v[50:51]
	v_mul_f64_e32 v[48:49], s[6:7], v[89:90]
	v_mul_f64_e32 v[50:51], s[6:7], v[99:100]
	v_add_f64_e32 v[83:84], v[131:132], v[83:84]
	v_add_f64_e64 v[81:82], v[81:82], -v[129:130]
	v_add_f64_e32 v[22:23], v[46:47], v[22:23]
	v_add_f64_e32 v[20:21], v[44:45], v[20:21]
	;; [unrolled: 1-line block ×4, first 2 shown]
	v_mul_f64_e32 v[44:45], s[22:23], v[89:90]
	v_mul_f64_e32 v[46:47], s[22:23], v[99:100]
	v_add_f64_e32 v[54:55], v[115:116], v[54:55]
	v_add_f64_e64 v[52:53], v[52:53], -v[113:114]
	v_add_f64_e32 v[18:19], v[77:78], v[18:19]
	v_add_f64_e32 v[16:17], v[79:80], v[16:17]
	;; [unrolled: 1-line block ×3, first 2 shown]
	v_add_f64_e64 v[48:49], v[48:49], -v[121:122]
	v_mul_f64_e32 v[56:57], s[18:19], v[103:104]
	v_mul_f64_e32 v[58:59], s[24:25], v[101:102]
	v_add_f64_e32 v[22:23], v[66:67], v[22:23]
	v_add_f64_e32 v[20:21], v[64:65], v[20:21]
	v_mul_f64_e32 v[64:65], s[28:29], v[103:104]
	v_mul_f64_e32 v[66:67], s[0:1], v[101:102]
	v_add_f64_e32 v[40:41], v[83:84], v[40:41]
	v_add_f64_e32 v[42:43], v[81:82], v[42:43]
	;; [unrolled: 1-line block ×3, first 2 shown]
	v_add_f64_e64 v[44:45], v[44:45], -v[107:108]
	v_add_f64_e32 v[18:19], v[54:55], v[18:19]
	v_add_f64_e32 v[16:17], v[52:53], v[16:17]
	v_add_f64_e64 v[56:57], v[105:106], -v[56:57]
	v_add_f64_e32 v[58:59], v[58:59], v[111:112]
	v_add_f64_e32 v[22:23], v[62:63], v[22:23]
	;; [unrolled: 1-line block ×3, first 2 shown]
	v_add_f64_e64 v[54:55], v[133:134], -v[64:65]
	v_add_f64_e32 v[52:53], v[66:67], v[135:136]
	v_add_f64_e32 v[40:41], v[50:51], v[40:41]
	;; [unrolled: 1-line block ×13, first 2 shown]
	v_and_b32_e32 v44, 0xffff, v143
	s_delay_alu instid0(VALU_DEP_1)
	v_add_lshl_u32 v44, v140, v44, 4
	ds_store_b128 v44, v[32:35] offset:64
	ds_store_b128 v44, v[28:31] offset:80
	;; [unrolled: 1-line block ×8, first 2 shown]
	ds_store_b128 v44, v[40:43]
	ds_store_b128 v44, v[20:23] offset:16
	ds_store_b128 v44, v[0:3] offset:160
.LBB0_7:
	s_wait_alu 0xfffe
	s_or_b32 exec_lo, exec_lo, s14
	v_lshlrev_b32_e32 v16, 5, v139
	s_load_b128 s[0:3], s[2:3], 0x0
	global_wb scope:SCOPE_SE
	s_wait_dscnt 0x0
	s_wait_kmcnt 0x0
	s_barrier_signal -1
	s_barrier_wait -1
	global_inv scope:SCOPE_SE
	s_clause 0x1
	global_load_b128 v[20:23], v16, s[4:5]
	global_load_b128 v[16:19], v16, s[4:5] offset:16
	v_add_lshl_u32 v53, v140, v139, 4
	ds_load_b128 v[40:43], v53 offset:176
	ds_load_b128 v[44:47], v53 offset:352
	s_mov_b32 s4, 0xe8584caa
	s_mov_b32 s5, 0x3febb67a
	;; [unrolled: 1-line block ×3, first 2 shown]
	s_wait_alu 0xfffe
	s_mov_b32 s6, s4
	v_lshl_add_u32 v52, v139, 4, v142
	s_wait_loadcnt_dscnt 0x101
	v_mul_f64_e32 v[48:49], v[42:43], v[22:23]
	s_wait_loadcnt_dscnt 0x0
	v_mul_f64_e32 v[50:51], v[46:47], v[18:19]
	v_mul_f64_e32 v[54:55], v[40:41], v[22:23]
	;; [unrolled: 1-line block ×3, first 2 shown]
	s_delay_alu instid0(VALU_DEP_4) | instskip(NEXT) | instid1(VALU_DEP_4)
	v_fma_f64 v[48:49], v[40:41], v[20:21], -v[48:49]
	v_fma_f64 v[44:45], v[44:45], v[16:17], -v[50:51]
	s_delay_alu instid0(VALU_DEP_4) | instskip(NEXT) | instid1(VALU_DEP_4)
	v_fma_f64 v[50:51], v[42:43], v[20:21], v[54:55]
	v_fma_f64 v[46:47], v[46:47], v[16:17], v[56:57]
	ds_load_b128 v[40:43], v53
	s_wait_dscnt 0x0
	v_add_f64_e32 v[58:59], v[40:41], v[48:49]
	v_add_f64_e32 v[54:55], v[48:49], v[44:45]
	v_add_f64_e64 v[62:63], v[48:49], -v[44:45]
	v_add_f64_e32 v[56:57], v[50:51], v[46:47]
	v_add_f64_e64 v[60:61], v[50:51], -v[46:47]
	v_add_f64_e32 v[50:51], v[42:43], v[50:51]
	v_fma_f64 v[54:55], v[54:55], -0.5, v[40:41]
	v_add_f64_e32 v[40:41], v[58:59], v[44:45]
	v_fma_f64 v[56:57], v[56:57], -0.5, v[42:43]
	s_delay_alu instid0(VALU_DEP_4) | instskip(NEXT) | instid1(VALU_DEP_4)
	v_add_f64_e32 v[42:43], v[50:51], v[46:47]
	v_fma_f64 v[44:45], v[60:61], s[4:5], v[54:55]
	s_wait_alu 0xfffe
	v_fma_f64 v[48:49], v[60:61], s[6:7], v[54:55]
	s_delay_alu instid0(VALU_DEP_4)
	v_fma_f64 v[46:47], v[62:63], s[6:7], v[56:57]
	v_fma_f64 v[50:51], v[62:63], s[4:5], v[56:57]
	ds_store_b128 v52, v[40:43]
	ds_store_b128 v52, v[44:47] offset:176
	ds_store_b128 v52, v[48:51] offset:352
	global_wb scope:SCOPE_SE
	s_wait_dscnt 0x0
	s_barrier_signal -1
	s_barrier_wait -1
	global_inv scope:SCOPE_SE
	s_and_saveexec_b32 s6, vcc_lo
	s_cbranch_execz .LBB0_9
; %bb.8:
	s_add_nc_u64 s[4:5], s[12:13], 0x210
	s_clause 0xa
	global_load_b128 v[54:57], v141, s[12:13] offset:528
	global_load_b128 v[58:61], v141, s[4:5] offset:48
	;; [unrolled: 1-line block ×11, first 2 shown]
	ds_load_b128 v[101:104], v52
	ds_load_b128 v[105:108], v52 offset:48
	ds_load_b128 v[109:112], v52 offset:96
	;; [unrolled: 1-line block ×10, first 2 shown]
	s_wait_loadcnt_dscnt 0xa0a
	v_mul_f64_e32 v[74:75], v[103:104], v[56:57]
	v_mul_f64_e32 v[56:57], v[101:102], v[56:57]
	s_wait_loadcnt_dscnt 0x909
	v_mul_f64_e32 v[152:153], v[107:108], v[60:61]
	v_mul_f64_e32 v[60:61], v[105:106], v[60:61]
	;; [unrolled: 3-line block ×11, first 2 shown]
	v_fma_f64 v[72:73], v[101:102], v[54:55], -v[74:75]
	v_fma_f64 v[74:75], v[103:104], v[54:55], v[56:57]
	v_fma_f64 v[54:55], v[105:106], v[58:59], -v[152:153]
	v_fma_f64 v[56:57], v[107:108], v[58:59], v[60:61]
	;; [unrolled: 2-line block ×11, first 2 shown]
	ds_store_b128 v52, v[72:75]
	ds_store_b128 v52, v[54:57] offset:48
	ds_store_b128 v52, v[58:61] offset:96
	;; [unrolled: 1-line block ×10, first 2 shown]
.LBB0_9:
	s_wait_alu 0xfffe
	s_or_b32 exec_lo, exec_lo, s6
	global_wb scope:SCOPE_SE
	s_wait_dscnt 0x0
	s_barrier_signal -1
	s_barrier_wait -1
	global_inv scope:SCOPE_SE
	s_and_saveexec_b32 s4, vcc_lo
	s_cbranch_execz .LBB0_11
; %bb.10:
	ds_load_b128 v[40:43], v52
	ds_load_b128 v[44:47], v52 offset:48
	ds_load_b128 v[48:51], v52 offset:96
	;; [unrolled: 1-line block ×10, first 2 shown]
.LBB0_11:
	s_wait_alu 0xfffe
	s_or_b32 exec_lo, exec_lo, s4
	global_wb scope:SCOPE_SE
	s_wait_dscnt 0x0
	s_barrier_signal -1
	s_barrier_wait -1
	global_inv scope:SCOPE_SE
	s_and_saveexec_b32 s33, vcc_lo
	s_cbranch_execz .LBB0_13
; %bb.12:
	v_add_f64_e32 v[54:55], v[46:47], v[42:43]
	v_add_f64_e32 v[56:57], v[44:45], v[40:41]
	v_add_f64_e64 v[72:73], v[44:45], -v[0:1]
	v_add_f64_e64 v[83:84], v[46:47], -v[2:3]
	;; [unrolled: 1-line block ×3, first 2 shown]
	v_add_f64_e32 v[68:69], v[38:39], v[10:11]
	v_add_f64_e64 v[79:80], v[38:39], -v[10:11]
	v_add_f64_e32 v[89:90], v[36:37], v[8:9]
	s_mov_b32 s36, 0x43842ef
	s_mov_b32 s4, 0x8eee2c13
	;; [unrolled: 1-line block ×9, first 2 shown]
	s_wait_alu 0xfffe
	s_mov_b32 s34, s4
	v_add_f64_e64 v[70:71], v[48:49], -v[4:5]
	v_add_f64_e64 v[81:82], v[50:51], -v[6:7]
	v_add_f64_e32 v[46:47], v[46:47], v[2:3]
	v_add_f64_e32 v[44:45], v[44:45], v[0:1]
	s_mov_b32 s14, 0xf8bb580b
	s_mov_b32 s15, 0x3fe14ced
	;; [unrolled: 1-line block ×3, first 2 shown]
	s_wait_alu 0xfffe
	s_mov_b32 s26, s14
	v_add_f64_e64 v[62:63], v[32:33], -v[12:13]
	v_add_f64_e32 v[64:65], v[34:35], v[14:15]
	v_add_f64_e64 v[77:78], v[34:35], -v[14:15]
	v_add_f64_e32 v[87:88], v[32:33], v[12:13]
	s_mov_b32 s28, 0x640f44db
	s_mov_b32 s6, 0xd9c712b6
	;; [unrolled: 1-line block ×8, first 2 shown]
	v_add_f64_e32 v[54:55], v[50:51], v[54:55]
	v_add_f64_e32 v[56:57], v[48:49], v[56:57]
	v_mul_f64_e32 v[99:100], s[16:17], v[72:73]
	v_mul_f64_e32 v[109:110], s[16:17], v[83:84]
	;; [unrolled: 1-line block ×7, first 2 shown]
	s_wait_alu 0xfffe
	v_mul_f64_e32 v[83:84], s[26:27], v[83:84]
	s_mov_b32 s39, 0x3fefac9e
	s_mov_b32 s25, 0x3fd207e7
	;; [unrolled: 1-line block ×4, first 2 shown]
	v_add_f64_e32 v[50:51], v[50:51], v[6:7]
	v_add_f64_e32 v[48:49], v[48:49], v[4:5]
	s_mov_b32 s22, 0x8764f0ba
	s_mov_b32 s23, 0x3feaeb8c
	v_mul_f64_e32 v[97:98], s[14:15], v[70:71]
	v_mul_f64_e32 v[107:108], s[14:15], v[81:82]
	;; [unrolled: 1-line block ×3, first 2 shown]
	s_wait_alu 0xfffe
	v_mul_f64_e32 v[148:149], s[24:25], v[70:71]
	v_mul_f64_e32 v[152:153], s[24:25], v[81:82]
	;; [unrolled: 1-line block ×5, first 2 shown]
	v_add_f64_e64 v[58:59], v[28:29], -v[24:25]
	v_add_f64_e32 v[60:61], v[26:27], v[30:31]
	v_add_f64_e32 v[74:75], v[24:25], v[28:29]
	v_add_f64_e64 v[85:86], v[30:31], -v[26:27]
	v_mul_f64_e32 v[95:96], s[10:11], v[66:67]
	v_mul_f64_e32 v[103:104], s[4:5], v[77:78]
	;; [unrolled: 1-line block ×8, first 2 shown]
	v_add_f64_e32 v[38:39], v[38:39], v[54:55]
	v_add_f64_e32 v[36:37], v[36:37], v[56:57]
	v_mul_f64_e32 v[56:57], s[10:11], v[72:73]
	v_mul_f64_e32 v[72:73], s[26:27], v[72:73]
	;; [unrolled: 1-line block ×4, first 2 shown]
	v_fma_f64 v[174:175], v[46:47], s[20:21], v[99:100]
	v_fma_f64 v[180:181], v[44:45], s[20:21], -v[109:110]
	v_fma_f64 v[186:187], v[44:45], s[18:19], -v[123:124]
	v_fma_f64 v[123:124], v[44:45], s[18:19], v[123:124]
	v_fma_f64 v[188:189], v[46:47], s[28:29], v[129:130]
	;; [unrolled: 1-line block ×3, first 2 shown]
	v_fma_f64 v[194:195], v[44:45], s[6:7], -v[146:147]
	v_fma_f64 v[144:145], v[46:47], s[6:7], -v[144:145]
	v_fma_f64 v[146:147], v[44:45], s[6:7], v[146:147]
	v_fma_f64 v[99:100], v[46:47], s[20:21], -v[99:100]
	v_fma_f64 v[109:110], v[44:45], s[20:21], v[109:110]
	v_fma_f64 v[190:191], v[44:45], s[28:29], -v[131:132]
	v_fma_f64 v[129:130], v[46:47], s[28:29], -v[129:130]
	v_fma_f64 v[131:132], v[44:45], s[28:29], v[131:132]
	v_fma_f64 v[198:199], v[44:45], s[22:23], -v[83:84]
	v_fma_f64 v[44:45], v[44:45], s[22:23], v[83:84]
	;; [unrolled: 2-line block ×3, first 2 shown]
	v_fma_f64 v[200:201], v[48:49], s[28:29], -v[125:126]
	v_fma_f64 v[204:205], v[48:49], s[20:21], -v[152:153]
	v_fma_f64 v[152:153], v[48:49], s[20:21], v[152:153]
	v_fma_f64 v[206:207], v[50:51], s[18:19], v[156:157]
	v_fma_f64 v[156:157], v[50:51], s[18:19], -v[156:157]
	v_fma_f64 v[208:209], v[48:49], s[18:19], v[160:161]
	v_fma_f64 v[160:161], v[48:49], s[18:19], -v[160:161]
	v_mul_f64_e32 v[121:122], s[26:27], v[79:80]
	v_mul_f64_e32 v[135:136], s[4:5], v[66:67]
	;; [unrolled: 1-line block ×7, first 2 shown]
	v_add_f64_e32 v[34:35], v[34:35], v[38:39]
	v_add_f64_e32 v[32:33], v[32:33], v[36:37]
	v_fma_f64 v[184:185], v[46:47], s[18:19], v[56:57]
	v_fma_f64 v[56:57], v[46:47], s[18:19], -v[56:57]
	v_fma_f64 v[196:197], v[46:47], s[22:23], v[72:73]
	v_fma_f64 v[46:47], v[46:47], s[22:23], -v[72:73]
	v_mul_f64_e32 v[36:37], s[10:11], v[77:78]
	v_fma_f64 v[77:78], v[50:51], s[22:23], v[97:98]
	v_fma_f64 v[97:98], v[50:51], s[22:23], -v[97:98]
	v_fma_f64 v[72:73], v[50:51], s[28:29], v[54:55]
	v_fma_f64 v[54:55], v[50:51], s[28:29], -v[54:55]
	v_fma_f64 v[210:211], v[50:51], s[6:7], v[70:71]
	v_add_f64_e32 v[123:124], v[40:41], v[123:124]
	v_add_f64_e32 v[144:145], v[42:43], v[144:145]
	;; [unrolled: 1-line block ×5, first 2 shown]
	v_mul_f64_e32 v[113:114], s[16:17], v[62:63]
	v_add_f64_e32 v[129:130], v[42:43], v[129:130]
	v_add_f64_e32 v[131:132], v[40:41], v[131:132]
	v_mul_f64_e32 v[133:134], s[26:27], v[62:63]
	v_add_f64_e32 v[44:45], v[40:41], v[44:45]
	v_mul_f64_e32 v[168:169], s[38:39], v[62:63]
	v_fma_f64 v[38:39], v[68:69], s[18:19], v[95:96]
	v_fma_f64 v[182:183], v[68:69], s[22:23], v[115:116]
	v_fma_f64 v[115:116], v[68:69], s[22:23], -v[115:116]
	v_fma_f64 v[95:96], v[68:69], s[18:19], -v[95:96]
	v_mul_f64_e32 v[62:63], s[10:11], v[62:63]
	v_mul_f64_e32 v[91:92], s[36:37], v[58:59]
	;; [unrolled: 1-line block ×4, first 2 shown]
	v_fma_f64 v[83:84], v[89:90], s[22:23], -v[121:122]
	v_fma_f64 v[121:122], v[89:90], s[22:23], v[121:122]
	v_fma_f64 v[202:203], v[89:90], s[6:7], -v[150:151]
	v_fma_f64 v[150:151], v[89:90], s[6:7], v[150:151]
	;; [unrolled: 2-line block ×3, first 2 shown]
	v_mul_f64_e32 v[170:171], s[22:23], v[74:75]
	v_add_f64_e32 v[30:31], v[30:31], v[34:35]
	v_add_f64_e32 v[28:29], v[28:29], v[32:33]
	v_fma_f64 v[32:33], v[48:49], s[28:29], v[125:126]
	v_fma_f64 v[125:126], v[50:51], s[20:21], v[148:149]
	v_fma_f64 v[148:149], v[50:51], s[20:21], -v[148:149]
	v_fma_f64 v[50:51], v[50:51], s[6:7], -v[70:71]
	;; [unrolled: 1-line block ×3, first 2 shown]
	v_fma_f64 v[48:49], v[48:49], s[6:7], v[81:82]
	v_add_f64_e32 v[81:82], v[42:43], v[174:175]
	v_add_f64_e32 v[174:175], v[40:41], v[180:181]
	;; [unrolled: 1-line block ×11, first 2 shown]
	v_fma_f64 v[46:47], v[68:69], s[20:21], -v[154:155]
	v_fma_f64 v[34:35], v[68:69], s[6:7], v[135:136]
	v_fma_f64 v[135:136], v[68:69], s[6:7], -v[135:136]
	v_add_f64_e32 v[97:98], v[97:98], v[99:100]
	v_add_f64_e32 v[99:100], v[107:108], v[109:110]
	v_fma_f64 v[196:197], v[64:65], s[6:7], v[93:94]
	v_fma_f64 v[212:213], v[87:88], s[6:7], -v[103:104]
	v_fma_f64 v[103:104], v[87:88], s[6:7], v[103:104]
	v_mul_f64_e32 v[127:128], s[10:11], v[58:59]
	v_mul_f64_e32 v[162:163], s[18:19], v[74:75]
	;; [unrolled: 1-line block ×6, first 2 shown]
	v_fma_f64 v[93:94], v[64:65], s[6:7], -v[93:94]
	s_mov_b32 s31, 0x3fe82f19
	s_mov_b32 s30, s10
	v_add_f64_e32 v[26:27], v[26:27], v[30:31]
	v_add_f64_e32 v[24:25], v[24:25], v[28:29]
	;; [unrolled: 1-line block ×3, first 2 shown]
	v_fma_f64 v[30:31], v[68:69], s[20:21], v[154:155]
	v_fma_f64 v[154:155], v[89:90], s[20:21], v[158:159]
	v_add_f64_e32 v[32:33], v[32:33], v[123:124]
	v_add_f64_e32 v[123:124], v[156:157], v[144:145]
	;; [unrolled: 1-line block ×12, first 2 shown]
	v_fma_f64 v[40:41], v[89:90], s[20:21], -v[158:159]
	v_add_f64_e32 v[144:145], v[206:207], v[190:191]
	v_add_f64_e32 v[146:147], v[160:161], v[192:193]
	v_fma_f64 v[158:159], v[68:69], s[28:29], v[66:67]
	v_fma_f64 v[66:67], v[68:69], s[28:29], -v[66:67]
	v_fma_f64 v[68:69], v[89:90], s[28:29], -v[79:80]
	v_fma_f64 v[79:80], v[89:90], s[28:29], v[79:80]
	v_add_f64_e32 v[42:43], v[50:51], v[42:43]
	v_add_f64_e32 v[44:45], v[48:49], v[44:45]
	;; [unrolled: 1-line block ×3, first 2 shown]
	v_fma_f64 v[48:49], v[64:65], s[20:21], -v[113:114]
	v_fma_f64 v[50:51], v[87:88], s[20:21], v[119:120]
	v_fma_f64 v[156:157], v[87:88], s[28:29], -v[172:173]
	v_fma_f64 v[160:161], v[64:65], s[28:29], -v[168:169]
	v_fma_f64 v[152:153], v[64:65], s[28:29], v[168:169]
	v_fma_f64 v[168:169], v[64:65], s[18:19], v[62:63]
	v_fma_f64 v[62:63], v[64:65], s[18:19], -v[62:63]
	v_fma_f64 v[89:90], v[60:61], s[28:29], v[91:92]
	v_fma_f64 v[198:199], v[85:86], s[38:39], v[101:102]
	v_fma_f64 v[91:92], v[60:61], s[28:29], -v[91:92]
	v_fma_f64 v[101:102], v[85:86], s[36:37], v[101:102]
	v_add_f64_e32 v[14:15], v[14:15], v[26:27]
	v_add_f64_e32 v[12:13], v[12:13], v[24:25]
	;; [unrolled: 1-line block ×3, first 2 shown]
	v_fma_f64 v[26:27], v[64:65], s[20:21], v[113:114]
	v_fma_f64 v[28:29], v[87:88], s[20:21], -v[119:120]
	v_fma_f64 v[70:71], v[64:65], s[22:23], v[133:134]
	v_fma_f64 v[113:114], v[87:88], s[22:23], -v[164:165]
	v_fma_f64 v[119:120], v[64:65], s[22:23], -v[133:134]
	v_fma_f64 v[133:134], v[87:88], s[22:23], v[164:165]
	v_fma_f64 v[164:165], v[87:88], s[28:29], v[172:173]
	v_fma_f64 v[172:173], v[87:88], s[18:19], -v[36:37]
	v_fma_f64 v[36:37], v[87:88], s[18:19], v[36:37]
	v_add_f64_e32 v[38:39], v[38:39], v[77:78]
	v_add_f64_e32 v[54:55], v[115:116], v[54:55]
	;; [unrolled: 1-line block ×19, first 2 shown]
	v_fma_f64 v[121:122], v[85:86], s[14:15], v[170:171]
	v_fma_f64 v[79:80], v[60:61], s[18:19], v[127:128]
	v_fma_f64 v[107:108], v[60:61], s[18:19], -v[127:128]
	v_fma_f64 v[109:110], v[85:86], s[10:11], v[162:163]
	v_fma_f64 v[66:67], v[60:61], s[6:7], -v[111:112]
	v_fma_f64 v[123:124], v[60:61], s[20:21], v[58:59]
	v_fma_f64 v[125:126], v[85:86], s[24:25], v[74:75]
	v_add_f64_e32 v[10:11], v[10:11], v[14:15]
	v_add_f64_e32 v[8:9], v[8:9], v[12:13]
	;; [unrolled: 1-line block ×3, first 2 shown]
	v_fma_f64 v[24:25], v[85:86], s[34:35], v[117:118]
	v_fma_f64 v[68:69], v[85:86], s[4:5], v[117:118]
	v_fma_f64 v[117:118], v[60:61], s[22:23], -v[166:167]
	v_fma_f64 v[14:15], v[60:61], s[6:7], v[111:112]
	v_fma_f64 v[111:112], v[60:61], s[22:23], v[166:167]
	v_fma_f64 v[58:59], v[60:61], s[20:21], -v[58:59]
	v_fma_f64 v[60:61], v[85:86], s[16:17], v[74:75]
	s_wait_alu 0xfffe
	v_fma_f64 v[105:106], v[85:86], s[30:31], v[162:163]
	v_fma_f64 v[115:116], v[85:86], s[26:27], v[170:171]
	v_add_f64_e32 v[38:39], v[196:197], v[38:39]
	v_add_f64_e32 v[48:49], v[48:49], v[54:55]
	;; [unrolled: 1-line block ×41, first 2 shown]
	v_and_b32_e32 v54, 0xffff, v143
	s_delay_alu instid0(VALU_DEP_1)
	v_lshl_add_u32 v54, v54, 4, v142
	v_add_f64_e32 v[2:3], v[83:84], v[2:3]
	v_add_f64_e32 v[0:1], v[0:1], v[85:86]
	;; [unrolled: 1-line block ×3, first 2 shown]
	ds_store_b128 v54, v[36:39] offset:32
	ds_store_b128 v54, v[32:35] offset:48
	;; [unrolled: 1-line block ×9, first 2 shown]
	ds_store_b128 v54, v[0:3]
	ds_store_b128 v54, v[44:47] offset:160
.LBB0_13:
	s_or_b32 exec_lo, exec_lo, s33
	global_wb scope:SCOPE_SE
	s_wait_dscnt 0x0
	s_barrier_signal -1
	s_barrier_wait -1
	global_inv scope:SCOPE_SE
	ds_load_b128 v[0:3], v53 offset:176
	ds_load_b128 v[4:7], v53 offset:352
	s_mov_b32 s4, 0xe8584caa
	s_mov_b32 s5, 0xbfebb67a
	;; [unrolled: 1-line block ×3, first 2 shown]
	s_wait_alu 0xfffe
	s_mov_b32 s6, s4
	s_wait_dscnt 0x1
	v_mul_f64_e32 v[8:9], v[22:23], v[2:3]
	s_wait_dscnt 0x0
	v_mul_f64_e32 v[10:11], v[18:19], v[6:7]
	v_mul_f64_e32 v[12:13], v[22:23], v[0:1]
	;; [unrolled: 1-line block ×3, first 2 shown]
	s_delay_alu instid0(VALU_DEP_4) | instskip(NEXT) | instid1(VALU_DEP_4)
	v_fma_f64 v[8:9], v[20:21], v[0:1], v[8:9]
	v_fma_f64 v[4:5], v[16:17], v[4:5], v[10:11]
	s_delay_alu instid0(VALU_DEP_4) | instskip(NEXT) | instid1(VALU_DEP_4)
	v_fma_f64 v[10:11], v[20:21], v[2:3], -v[12:13]
	v_fma_f64 v[6:7], v[16:17], v[6:7], -v[14:15]
	ds_load_b128 v[0:3], v53
	s_wait_dscnt 0x0
	v_add_f64_e32 v[16:17], v[0:1], v[8:9]
	v_add_f64_e32 v[12:13], v[8:9], v[4:5]
	v_add_f64_e64 v[20:21], v[8:9], -v[4:5]
	v_add_f64_e32 v[14:15], v[10:11], v[6:7]
	v_add_f64_e64 v[18:19], v[10:11], -v[6:7]
	v_add_f64_e32 v[10:11], v[2:3], v[10:11]
	v_fma_f64 v[12:13], v[12:13], -0.5, v[0:1]
	v_add_f64_e32 v[0:1], v[16:17], v[4:5]
	v_fma_f64 v[14:15], v[14:15], -0.5, v[2:3]
	s_delay_alu instid0(VALU_DEP_4) | instskip(NEXT) | instid1(VALU_DEP_4)
	v_add_f64_e32 v[2:3], v[10:11], v[6:7]
	v_fma_f64 v[4:5], v[18:19], s[4:5], v[12:13]
	s_wait_alu 0xfffe
	v_fma_f64 v[8:9], v[18:19], s[6:7], v[12:13]
	s_delay_alu instid0(VALU_DEP_4)
	v_fma_f64 v[6:7], v[20:21], s[6:7], v[14:15]
	v_fma_f64 v[10:11], v[20:21], s[4:5], v[14:15]
	ds_store_b128 v52, v[0:3]
	ds_store_b128 v52, v[4:7] offset:176
	ds_store_b128 v52, v[8:11] offset:352
	global_wb scope:SCOPE_SE
	s_wait_dscnt 0x0
	s_barrier_signal -1
	s_barrier_wait -1
	global_inv scope:SCOPE_SE
	s_and_b32 exec_lo, exec_lo, vcc_lo
	s_cbranch_execz .LBB0_15
; %bb.14:
	s_clause 0xa
	global_load_b128 v[0:3], v141, s[12:13]
	global_load_b128 v[4:7], v141, s[12:13] offset:48
	global_load_b128 v[8:11], v141, s[12:13] offset:96
	;; [unrolled: 1-line block ×10, first 2 shown]
	v_mad_co_u64_u32 v[77:78], null, s2, v76, 0
	v_mad_co_u64_u32 v[88:89], null, s0, v139, 0
	v_lshl_add_u32 v84, v140, 4, v141
	v_mad_co_u64_u32 v[112:113], null, s0, v137, 0
	v_mad_co_u64_u32 v[116:117], null, s0, v138, 0
	s_delay_alu instid0(VALU_DEP_4) | instskip(SKIP_3) | instid1(VALU_DEP_1)
	v_dual_mov_b32 v44, v78 :: v_dual_mov_b32 v53, v89
	s_mov_b32 s4, 0xf07c1f08
	s_mov_b32 s5, 0x3f9f07c1
	s_mul_i32 s6, s1, 0x60
	v_mad_co_u64_u32 v[60:61], null, s3, v76, v[44:45]
	ds_load_b128 v[44:47], v52
	ds_load_b128 v[48:51], v84 offset:48
	v_mad_co_u64_u32 v[79:80], null, s1, v139, v[53:54]
	ds_load_b128 v[52:55], v84 offset:96
	ds_load_b128 v[56:59], v84 offset:144
	s_mul_u64 s[2:3], s[0:1], 48
	v_mov_b32_e32 v78, v60
	ds_load_b128 v[60:63], v84 offset:192
	ds_load_b128 v[64:67], v84 offset:240
	;; [unrolled: 1-line block ×4, first 2 shown]
	v_mov_b32_e32 v89, v79
	v_lshlrev_b64_e32 v[90:91], 4, v[77:78]
	ds_load_b128 v[76:79], v84 offset:384
	ds_load_b128 v[80:83], v84 offset:432
	;; [unrolled: 1-line block ×3, first 2 shown]
	v_lshlrev_b64_e32 v[88:89], 4, v[88:89]
	v_add_co_u32 v120, vcc_lo, s8, v90
	v_add_co_ci_u32_e32 v121, vcc_lo, s9, v91, vcc_lo
	s_delay_alu instid0(VALU_DEP_2) | instskip(SKIP_1) | instid1(VALU_DEP_2)
	v_add_co_u32 v88, vcc_lo, v120, v88
	s_wait_alu 0xfffd
	v_add_co_ci_u32_e32 v89, vcc_lo, v121, v89, vcc_lo
	s_wait_alu 0xfffe
	s_delay_alu instid0(VALU_DEP_2) | instskip(SKIP_1) | instid1(VALU_DEP_2)
	v_add_co_u32 v114, vcc_lo, v88, s2
	s_wait_alu 0xfffd
	v_add_co_ci_u32_e32 v115, vcc_lo, s3, v89, vcc_lo
	s_delay_alu instid0(VALU_DEP_2) | instskip(SKIP_1) | instid1(VALU_DEP_2)
	v_add_co_u32 v118, vcc_lo, v114, s2
	s_wait_alu 0xfffd
	v_add_co_ci_u32_e32 v119, vcc_lo, s3, v115, vcc_lo
	s_wait_loadcnt_dscnt 0xa0a
	v_mul_f64_e32 v[90:91], v[46:47], v[2:3]
	v_mul_f64_e32 v[2:3], v[44:45], v[2:3]
	s_wait_loadcnt_dscnt 0x909
	v_mul_f64_e32 v[92:93], v[50:51], v[6:7]
	v_mul_f64_e32 v[6:7], v[48:49], v[6:7]
	;; [unrolled: 3-line block ×11, first 2 shown]
	v_fma_f64 v[44:45], v[44:45], v[0:1], v[90:91]
	v_fma_f64 v[2:3], v[0:1], v[46:47], -v[2:3]
	v_fma_f64 v[46:47], v[48:49], v[4:5], v[92:93]
	v_fma_f64 v[6:7], v[4:5], v[50:51], -v[6:7]
	;; [unrolled: 2-line block ×11, first 2 shown]
	v_dual_mov_b32 v0, v113 :: v_dual_mov_b32 v1, v117
	v_add_co_u32 v66, vcc_lo, v118, s2
	s_wait_alu 0xfffd
	v_add_co_ci_u32_e32 v67, vcc_lo, s3, v119, vcc_lo
	s_delay_alu instid0(VALU_DEP_3) | instskip(NEXT) | instid1(VALU_DEP_2)
	v_mad_co_u64_u32 v[70:71], null, s1, v137, v[0:1]
	v_mad_co_u64_u32 v[68:69], null, 0x60, s0, v[66:67]
	s_delay_alu instid0(VALU_DEP_2) | instskip(NEXT) | instid1(VALU_DEP_2)
	v_mov_b32_e32 v113, v70
	v_add_nc_u32_e32 v69, s6, v69
	v_mad_co_u64_u32 v[71:72], null, s1, v138, v[1:2]
	v_mul_f64_e32 v[0:1], s[4:5], v[44:45]
	v_mul_f64_e32 v[2:3], s[4:5], v[2:3]
	;; [unrolled: 1-line block ×22, first 2 shown]
	v_add_co_u32 v44, vcc_lo, v68, s2
	s_wait_alu 0xfffd
	v_add_co_ci_u32_e32 v45, vcc_lo, s3, v69, vcc_lo
	v_mov_b32_e32 v117, v71
	s_delay_alu instid0(VALU_DEP_3) | instskip(SKIP_1) | instid1(VALU_DEP_3)
	v_add_co_u32 v46, vcc_lo, v44, s2
	s_wait_alu 0xfffd
	v_add_co_ci_u32_e32 v47, vcc_lo, s3, v45, vcc_lo
	v_lshlrev_b64_e32 v[48:49], 4, v[112:113]
	v_lshlrev_b64_e32 v[52:53], 4, v[116:117]
	s_delay_alu instid0(VALU_DEP_3) | instskip(NEXT) | instid1(VALU_DEP_3)
	v_mad_co_u64_u32 v[50:51], null, 0x60, s0, v[46:47]
	v_add_co_u32 v48, vcc_lo, v120, v48
	s_wait_alu 0xfffd
	s_delay_alu instid0(VALU_DEP_4) | instskip(NEXT) | instid1(VALU_DEP_4)
	v_add_co_ci_u32_e32 v49, vcc_lo, v121, v49, vcc_lo
	v_add_co_u32 v52, vcc_lo, v120, v52
	s_delay_alu instid0(VALU_DEP_4)
	v_add_nc_u32_e32 v51, s6, v51
	s_wait_alu 0xfffd
	v_add_co_ci_u32_e32 v53, vcc_lo, v121, v53, vcc_lo
	v_add_co_u32 v54, vcc_lo, v50, s2
	s_wait_alu 0xfffd
	v_add_co_ci_u32_e32 v55, vcc_lo, s3, v51, vcc_lo
	s_clause 0x5
	global_store_b128 v[88:89], v[0:3], off
	global_store_b128 v[114:115], v[4:7], off
	;; [unrolled: 1-line block ×11, first 2 shown]
.LBB0_15:
	s_nop 0
	s_sendmsg sendmsg(MSG_DEALLOC_VGPRS)
	s_endpgm
	.section	.rodata,"a",@progbits
	.p2align	6, 0x0
	.amdhsa_kernel bluestein_single_fwd_len33_dim1_dp_op_CI_CI
		.amdhsa_group_segment_fixed_size 12144
		.amdhsa_private_segment_fixed_size 0
		.amdhsa_kernarg_size 104
		.amdhsa_user_sgpr_count 2
		.amdhsa_user_sgpr_dispatch_ptr 0
		.amdhsa_user_sgpr_queue_ptr 0
		.amdhsa_user_sgpr_kernarg_segment_ptr 1
		.amdhsa_user_sgpr_dispatch_id 0
		.amdhsa_user_sgpr_private_segment_size 0
		.amdhsa_wavefront_size32 1
		.amdhsa_uses_dynamic_stack 0
		.amdhsa_enable_private_segment 0
		.amdhsa_system_sgpr_workgroup_id_x 1
		.amdhsa_system_sgpr_workgroup_id_y 0
		.amdhsa_system_sgpr_workgroup_id_z 0
		.amdhsa_system_sgpr_workgroup_info 0
		.amdhsa_system_vgpr_workitem_id 0
		.amdhsa_next_free_vgpr 214
		.amdhsa_next_free_sgpr 40
		.amdhsa_reserve_vcc 1
		.amdhsa_float_round_mode_32 0
		.amdhsa_float_round_mode_16_64 0
		.amdhsa_float_denorm_mode_32 3
		.amdhsa_float_denorm_mode_16_64 3
		.amdhsa_fp16_overflow 0
		.amdhsa_workgroup_processor_mode 1
		.amdhsa_memory_ordered 1
		.amdhsa_forward_progress 0
		.amdhsa_round_robin_scheduling 0
		.amdhsa_exception_fp_ieee_invalid_op 0
		.amdhsa_exception_fp_denorm_src 0
		.amdhsa_exception_fp_ieee_div_zero 0
		.amdhsa_exception_fp_ieee_overflow 0
		.amdhsa_exception_fp_ieee_underflow 0
		.amdhsa_exception_fp_ieee_inexact 0
		.amdhsa_exception_int_div_zero 0
	.end_amdhsa_kernel
	.text
.Lfunc_end0:
	.size	bluestein_single_fwd_len33_dim1_dp_op_CI_CI, .Lfunc_end0-bluestein_single_fwd_len33_dim1_dp_op_CI_CI
                                        ; -- End function
	.section	.AMDGPU.csdata,"",@progbits
; Kernel info:
; codeLenInByte = 8136
; NumSgprs: 42
; NumVgprs: 214
; ScratchSize: 0
; MemoryBound: 0
; FloatMode: 240
; IeeeMode: 1
; LDSByteSize: 12144 bytes/workgroup (compile time only)
; SGPRBlocks: 5
; VGPRBlocks: 26
; NumSGPRsForWavesPerEU: 42
; NumVGPRsForWavesPerEU: 214
; Occupancy: 7
; WaveLimiterHint : 1
; COMPUTE_PGM_RSRC2:SCRATCH_EN: 0
; COMPUTE_PGM_RSRC2:USER_SGPR: 2
; COMPUTE_PGM_RSRC2:TRAP_HANDLER: 0
; COMPUTE_PGM_RSRC2:TGID_X_EN: 1
; COMPUTE_PGM_RSRC2:TGID_Y_EN: 0
; COMPUTE_PGM_RSRC2:TGID_Z_EN: 0
; COMPUTE_PGM_RSRC2:TIDIG_COMP_CNT: 0
	.text
	.p2alignl 7, 3214868480
	.fill 96, 4, 3214868480
	.type	__hip_cuid_b72f9a63f4a8043e,@object ; @__hip_cuid_b72f9a63f4a8043e
	.section	.bss,"aw",@nobits
	.globl	__hip_cuid_b72f9a63f4a8043e
__hip_cuid_b72f9a63f4a8043e:
	.byte	0                               ; 0x0
	.size	__hip_cuid_b72f9a63f4a8043e, 1

	.ident	"AMD clang version 19.0.0git (https://github.com/RadeonOpenCompute/llvm-project roc-6.4.0 25133 c7fe45cf4b819c5991fe208aaa96edf142730f1d)"
	.section	".note.GNU-stack","",@progbits
	.addrsig
	.addrsig_sym __hip_cuid_b72f9a63f4a8043e
	.amdgpu_metadata
---
amdhsa.kernels:
  - .args:
      - .actual_access:  read_only
        .address_space:  global
        .offset:         0
        .size:           8
        .value_kind:     global_buffer
      - .actual_access:  read_only
        .address_space:  global
        .offset:         8
        .size:           8
        .value_kind:     global_buffer
      - .actual_access:  read_only
        .address_space:  global
        .offset:         16
        .size:           8
        .value_kind:     global_buffer
      - .actual_access:  read_only
        .address_space:  global
        .offset:         24
        .size:           8
        .value_kind:     global_buffer
      - .actual_access:  read_only
        .address_space:  global
        .offset:         32
        .size:           8
        .value_kind:     global_buffer
      - .offset:         40
        .size:           8
        .value_kind:     by_value
      - .address_space:  global
        .offset:         48
        .size:           8
        .value_kind:     global_buffer
      - .address_space:  global
        .offset:         56
        .size:           8
        .value_kind:     global_buffer
      - .address_space:  global
        .offset:         64
        .size:           8
        .value_kind:     global_buffer
      - .address_space:  global
        .offset:         72
        .size:           8
        .value_kind:     global_buffer
      - .offset:         80
        .size:           4
        .value_kind:     by_value
      - .address_space:  global
        .offset:         88
        .size:           8
        .value_kind:     global_buffer
      - .address_space:  global
        .offset:         96
        .size:           8
        .value_kind:     global_buffer
    .group_segment_fixed_size: 12144
    .kernarg_segment_align: 8
    .kernarg_segment_size: 104
    .language:       OpenCL C
    .language_version:
      - 2
      - 0
    .max_flat_workgroup_size: 253
    .name:           bluestein_single_fwd_len33_dim1_dp_op_CI_CI
    .private_segment_fixed_size: 0
    .sgpr_count:     42
    .sgpr_spill_count: 0
    .symbol:         bluestein_single_fwd_len33_dim1_dp_op_CI_CI.kd
    .uniform_work_group_size: 1
    .uses_dynamic_stack: false
    .vgpr_count:     214
    .vgpr_spill_count: 0
    .wavefront_size: 32
    .workgroup_processor_mode: 1
amdhsa.target:   amdgcn-amd-amdhsa--gfx1201
amdhsa.version:
  - 1
  - 2
...

	.end_amdgpu_metadata
